;; amdgpu-corpus repo=ROCm/rocFFT kind=compiled arch=gfx906 opt=O3
	.text
	.amdgcn_target "amdgcn-amd-amdhsa--gfx906"
	.amdhsa_code_object_version 6
	.protected	fft_rtc_back_len770_factors_11_10_7_wgs_220_tpt_110_dp_op_CI_CI_unitstride_sbrr_dirReg ; -- Begin function fft_rtc_back_len770_factors_11_10_7_wgs_220_tpt_110_dp_op_CI_CI_unitstride_sbrr_dirReg
	.globl	fft_rtc_back_len770_factors_11_10_7_wgs_220_tpt_110_dp_op_CI_CI_unitstride_sbrr_dirReg
	.p2align	8
	.type	fft_rtc_back_len770_factors_11_10_7_wgs_220_tpt_110_dp_op_CI_CI_unitstride_sbrr_dirReg,@function
fft_rtc_back_len770_factors_11_10_7_wgs_220_tpt_110_dp_op_CI_CI_unitstride_sbrr_dirReg: ; @fft_rtc_back_len770_factors_11_10_7_wgs_220_tpt_110_dp_op_CI_CI_unitstride_sbrr_dirReg
; %bb.0:
	s_load_dwordx4 s[8:11], s[4:5], 0x58
	s_load_dwordx4 s[12:15], s[4:5], 0x0
	;; [unrolled: 1-line block ×3, first 2 shown]
	v_mul_u32_u24_e32 v1, 0x254, v0
	v_lshrrev_b32_e32 v94, 16, v1
	v_mov_b32_e32 v1, 0
	s_waitcnt lgkmcnt(0)
	v_cmp_lt_u64_e64 s[0:1], s[14:15], 2
	v_mov_b32_e32 v51, 0
	v_lshl_add_u32 v3, s6, 1, v94
	v_mov_b32_e32 v4, v1
	s_and_b64 vcc, exec, s[0:1]
	v_mov_b32_e32 v52, 0
	s_cbranch_vccnz .LBB0_8
; %bb.1:
	s_load_dwordx2 s[0:1], s[4:5], 0x10
	s_add_u32 s2, s18, 8
	s_addc_u32 s3, s19, 0
	s_add_u32 s6, s16, 8
	s_addc_u32 s7, s17, 0
	v_mov_b32_e32 v51, 0
	s_waitcnt lgkmcnt(0)
	s_add_u32 s20, s0, 8
	v_mov_b32_e32 v52, 0
	v_mov_b32_e32 v44, v51
	s_addc_u32 s21, s1, 0
	s_mov_b64 s[22:23], 1
	v_mov_b32_e32 v45, v52
.LBB0_2:                                ; =>This Inner Loop Header: Depth=1
	s_load_dwordx2 s[24:25], s[20:21], 0x0
                                        ; implicit-def: $vgpr46_vgpr47
	s_waitcnt lgkmcnt(0)
	v_or_b32_e32 v2, s25, v4
	v_cmp_ne_u64_e32 vcc, 0, v[1:2]
	s_and_saveexec_b64 s[0:1], vcc
	s_xor_b64 s[26:27], exec, s[0:1]
	s_cbranch_execz .LBB0_4
; %bb.3:                                ;   in Loop: Header=BB0_2 Depth=1
	v_cvt_f32_u32_e32 v2, s24
	v_cvt_f32_u32_e32 v5, s25
	s_sub_u32 s0, 0, s24
	s_subb_u32 s1, 0, s25
	v_mac_f32_e32 v2, 0x4f800000, v5
	v_rcp_f32_e32 v2, v2
	v_mul_f32_e32 v2, 0x5f7ffffc, v2
	v_mul_f32_e32 v5, 0x2f800000, v2
	v_trunc_f32_e32 v5, v5
	v_mac_f32_e32 v2, 0xcf800000, v5
	v_cvt_u32_f32_e32 v5, v5
	v_cvt_u32_f32_e32 v2, v2
	v_mul_lo_u32 v6, s0, v5
	v_mul_hi_u32 v7, s0, v2
	v_mul_lo_u32 v9, s1, v2
	v_mul_lo_u32 v8, s0, v2
	v_add_u32_e32 v6, v7, v6
	v_add_u32_e32 v6, v6, v9
	v_mul_hi_u32 v7, v2, v8
	v_mul_lo_u32 v9, v2, v6
	v_mul_hi_u32 v11, v2, v6
	v_mul_hi_u32 v10, v5, v8
	v_mul_lo_u32 v8, v5, v8
	v_mul_hi_u32 v12, v5, v6
	v_add_co_u32_e32 v7, vcc, v7, v9
	v_addc_co_u32_e32 v9, vcc, 0, v11, vcc
	v_mul_lo_u32 v6, v5, v6
	v_add_co_u32_e32 v7, vcc, v7, v8
	v_addc_co_u32_e32 v7, vcc, v9, v10, vcc
	v_addc_co_u32_e32 v8, vcc, 0, v12, vcc
	v_add_co_u32_e32 v6, vcc, v7, v6
	v_addc_co_u32_e32 v7, vcc, 0, v8, vcc
	v_add_co_u32_e32 v2, vcc, v2, v6
	v_addc_co_u32_e32 v5, vcc, v5, v7, vcc
	v_mul_lo_u32 v6, s0, v5
	v_mul_hi_u32 v7, s0, v2
	v_mul_lo_u32 v8, s1, v2
	v_mul_lo_u32 v9, s0, v2
	v_add_u32_e32 v6, v7, v6
	v_add_u32_e32 v6, v6, v8
	v_mul_lo_u32 v10, v2, v6
	v_mul_hi_u32 v11, v2, v9
	v_mul_hi_u32 v12, v2, v6
	;; [unrolled: 1-line block ×3, first 2 shown]
	v_mul_lo_u32 v9, v5, v9
	v_mul_hi_u32 v7, v5, v6
	v_add_co_u32_e32 v10, vcc, v11, v10
	v_addc_co_u32_e32 v11, vcc, 0, v12, vcc
	v_mul_lo_u32 v6, v5, v6
	v_add_co_u32_e32 v9, vcc, v10, v9
	v_addc_co_u32_e32 v8, vcc, v11, v8, vcc
	v_addc_co_u32_e32 v7, vcc, 0, v7, vcc
	v_add_co_u32_e32 v6, vcc, v8, v6
	v_addc_co_u32_e32 v7, vcc, 0, v7, vcc
	v_add_co_u32_e32 v2, vcc, v2, v6
	v_addc_co_u32_e32 v7, vcc, v5, v7, vcc
	v_mad_u64_u32 v[5:6], s[0:1], v3, v7, 0
	v_mul_hi_u32 v8, v3, v2
	v_add_co_u32_e32 v9, vcc, v8, v5
	v_addc_co_u32_e32 v10, vcc, 0, v6, vcc
	v_mad_u64_u32 v[5:6], s[0:1], v4, v2, 0
	v_mad_u64_u32 v[7:8], s[0:1], v4, v7, 0
	v_add_co_u32_e32 v2, vcc, v9, v5
	v_addc_co_u32_e32 v2, vcc, v10, v6, vcc
	v_addc_co_u32_e32 v5, vcc, 0, v8, vcc
	v_add_co_u32_e32 v2, vcc, v2, v7
	v_addc_co_u32_e32 v7, vcc, 0, v5, vcc
	v_mul_lo_u32 v8, s25, v2
	v_mul_lo_u32 v9, s24, v7
	v_mad_u64_u32 v[5:6], s[0:1], s24, v2, 0
	v_add3_u32 v6, v6, v9, v8
	v_sub_u32_e32 v8, v4, v6
	v_mov_b32_e32 v9, s25
	v_sub_co_u32_e32 v5, vcc, v3, v5
	v_subb_co_u32_e64 v8, s[0:1], v8, v9, vcc
	v_subrev_co_u32_e64 v9, s[0:1], s24, v5
	v_subbrev_co_u32_e64 v8, s[0:1], 0, v8, s[0:1]
	v_cmp_le_u32_e64 s[0:1], s25, v8
	v_cndmask_b32_e64 v10, 0, -1, s[0:1]
	v_cmp_le_u32_e64 s[0:1], s24, v9
	v_cndmask_b32_e64 v9, 0, -1, s[0:1]
	v_cmp_eq_u32_e64 s[0:1], s25, v8
	v_cndmask_b32_e64 v8, v10, v9, s[0:1]
	v_add_co_u32_e64 v9, s[0:1], 2, v2
	v_addc_co_u32_e64 v10, s[0:1], 0, v7, s[0:1]
	v_add_co_u32_e64 v11, s[0:1], 1, v2
	v_addc_co_u32_e64 v12, s[0:1], 0, v7, s[0:1]
	v_subb_co_u32_e32 v6, vcc, v4, v6, vcc
	v_cmp_ne_u32_e64 s[0:1], 0, v8
	v_cmp_le_u32_e32 vcc, s25, v6
	v_cndmask_b32_e64 v8, v12, v10, s[0:1]
	v_cndmask_b32_e64 v10, 0, -1, vcc
	v_cmp_le_u32_e32 vcc, s24, v5
	v_cndmask_b32_e64 v5, 0, -1, vcc
	v_cmp_eq_u32_e32 vcc, s25, v6
	v_cndmask_b32_e32 v5, v10, v5, vcc
	v_cmp_ne_u32_e32 vcc, 0, v5
	v_cndmask_b32_e64 v5, v11, v9, s[0:1]
	v_cndmask_b32_e32 v47, v7, v8, vcc
	v_cndmask_b32_e32 v46, v2, v5, vcc
.LBB0_4:                                ;   in Loop: Header=BB0_2 Depth=1
	s_andn2_saveexec_b64 s[0:1], s[26:27]
	s_cbranch_execz .LBB0_6
; %bb.5:                                ;   in Loop: Header=BB0_2 Depth=1
	v_cvt_f32_u32_e32 v2, s24
	s_sub_i32 s26, 0, s24
	v_mov_b32_e32 v47, v1
	v_rcp_iflag_f32_e32 v2, v2
	v_mul_f32_e32 v2, 0x4f7ffffe, v2
	v_cvt_u32_f32_e32 v2, v2
	v_mul_lo_u32 v5, s26, v2
	v_mul_hi_u32 v5, v2, v5
	v_add_u32_e32 v2, v2, v5
	v_mul_hi_u32 v2, v3, v2
	v_mul_lo_u32 v5, v2, s24
	v_add_u32_e32 v6, 1, v2
	v_sub_u32_e32 v5, v3, v5
	v_subrev_u32_e32 v7, s24, v5
	v_cmp_le_u32_e32 vcc, s24, v5
	v_cndmask_b32_e32 v5, v5, v7, vcc
	v_cndmask_b32_e32 v2, v2, v6, vcc
	v_add_u32_e32 v6, 1, v2
	v_cmp_le_u32_e32 vcc, s24, v5
	v_cndmask_b32_e32 v46, v2, v6, vcc
.LBB0_6:                                ;   in Loop: Header=BB0_2 Depth=1
	s_or_b64 exec, exec, s[0:1]
	v_mul_lo_u32 v2, v47, s24
	v_mul_lo_u32 v7, v46, s25
	v_mad_u64_u32 v[5:6], s[0:1], v46, s24, 0
	s_load_dwordx2 s[0:1], s[6:7], 0x0
	s_load_dwordx2 s[24:25], s[2:3], 0x0
	v_add3_u32 v2, v6, v7, v2
	v_sub_co_u32_e32 v3, vcc, v3, v5
	v_subb_co_u32_e32 v2, vcc, v4, v2, vcc
	s_waitcnt lgkmcnt(0)
	v_mul_lo_u32 v4, s0, v2
	v_mul_lo_u32 v5, s1, v3
	v_mad_u64_u32 v[51:52], s[0:1], s0, v3, v[51:52]
	v_mul_lo_u32 v2, s24, v2
	v_mul_lo_u32 v6, s25, v3
	v_mad_u64_u32 v[44:45], s[0:1], s24, v3, v[44:45]
	s_add_u32 s22, s22, 1
	s_addc_u32 s23, s23, 0
	s_add_u32 s2, s2, 8
	v_add3_u32 v45, v6, v45, v2
	s_addc_u32 s3, s3, 0
	v_mov_b32_e32 v2, s14
	s_add_u32 s6, s6, 8
	v_mov_b32_e32 v3, s15
	s_addc_u32 s7, s7, 0
	v_cmp_ge_u64_e32 vcc, s[22:23], v[2:3]
	s_add_u32 s20, s20, 8
	v_add3_u32 v52, v5, v52, v4
	s_addc_u32 s21, s21, 0
	s_cbranch_vccnz .LBB0_9
; %bb.7:                                ;   in Loop: Header=BB0_2 Depth=1
	v_mov_b32_e32 v3, v46
	v_mov_b32_e32 v4, v47
	s_branch .LBB0_2
.LBB0_8:
	v_mov_b32_e32 v44, v51
	v_mov_b32_e32 v47, v4
	;; [unrolled: 1-line block ×4, first 2 shown]
.LBB0_9:
	s_lshl_b64 s[14:15], s[14:15], 3
	s_load_dwordx2 s[0:1], s[4:5], 0x28
	s_add_u32 s2, s18, s14
	s_mov_b32 s3, 0x253c826
	v_mul_hi_u32 v1, v0, s3
	s_addc_u32 s3, s19, s15
	s_load_dwordx2 s[2:3], s[2:3], 0x0
	s_waitcnt lgkmcnt(0)
	v_cmp_gt_u64_e32 vcc, s[0:1], v[46:47]
	v_mul_u32_u24_e32 v1, 0x6e, v1
	v_sub_u32_e32 v49, v0, v1
	v_mov_b32_e32 v48, 0
                                        ; implicit-def: $vgpr2_vgpr3
                                        ; implicit-def: $vgpr30_vgpr31
                                        ; implicit-def: $vgpr26_vgpr27
                                        ; implicit-def: $vgpr38_vgpr39
                                        ; implicit-def: $vgpr22_vgpr23
                                        ; implicit-def: $vgpr18_vgpr19
                                        ; implicit-def: $vgpr42_vgpr43
                                        ; implicit-def: $vgpr34_vgpr35
                                        ; implicit-def: $vgpr14_vgpr15
                                        ; implicit-def: $vgpr10_vgpr11
                                        ; implicit-def: $vgpr6_vgpr7
	s_and_saveexec_b64 s[4:5], vcc
	s_cbranch_execz .LBB0_13
; %bb.10:
	s_movk_i32 s0, 0x46
	v_cmp_gt_u32_e64 s[0:1], s0, v49
                                        ; implicit-def: $vgpr4_vgpr5
                                        ; implicit-def: $vgpr8_vgpr9
                                        ; implicit-def: $vgpr12_vgpr13
                                        ; implicit-def: $vgpr32_vgpr33
                                        ; implicit-def: $vgpr40_vgpr41
                                        ; implicit-def: $vgpr16_vgpr17
                                        ; implicit-def: $vgpr20_vgpr21
                                        ; implicit-def: $vgpr36_vgpr37
                                        ; implicit-def: $vgpr24_vgpr25
                                        ; implicit-def: $vgpr28_vgpr29
                                        ; implicit-def: $vgpr0_vgpr1
	s_and_saveexec_b64 s[6:7], s[0:1]
	s_cbranch_execz .LBB0_12
; %bb.11:
	s_add_u32 s0, s16, s14
	s_addc_u32 s1, s17, s15
	s_load_dwordx2 s[0:1], s[0:1], 0x0
	v_mov_b32_e32 v4, s9
	v_mov_b32_e32 v50, 0
	s_waitcnt lgkmcnt(0)
	v_mul_lo_u32 v2, s1, v46
	v_mul_lo_u32 v3, s0, v47
	v_mad_u64_u32 v[0:1], s[0:1], s0, v46, 0
	v_add3_u32 v1, v1, v3, v2
	v_lshlrev_b64 v[0:1], 4, v[0:1]
	v_add_co_u32_e64 v2, s[0:1], s8, v0
	v_addc_co_u32_e64 v3, s[0:1], v4, v1, s[0:1]
	v_lshlrev_b64 v[0:1], 4, v[51:52]
	v_add_co_u32_e64 v2, s[0:1], v2, v0
	v_addc_co_u32_e64 v3, s[0:1], v3, v1, s[0:1]
	;; [unrolled: 3-line block ×3, first 2 shown]
	s_movk_i32 s0, 0x1000
	v_add_co_u32_e64 v50, s[0:1], s0, v0
	v_addc_co_u32_e64 v51, s[0:1], 0, v1, s[0:1]
	s_movk_i32 s0, 0x2000
	v_add_co_u32_e64 v52, s[0:1], s0, v0
	global_load_dwordx4 v[4:7], v[0:1], off
	global_load_dwordx4 v[8:11], v[0:1], off offset:1120
	global_load_dwordx4 v[12:15], v[0:1], off offset:2240
	;; [unrolled: 1-line block ×3, first 2 shown]
	v_addc_co_u32_e64 v53, s[0:1], 0, v1, s[0:1]
	global_load_dwordx4 v[40:43], v[50:51], off offset:384
	global_load_dwordx4 v[16:19], v[50:51], off offset:1504
	global_load_dwordx4 v[20:23], v[50:51], off offset:2624
	global_load_dwordx4 v[36:39], v[50:51], off offset:3744
	global_load_dwordx4 v[24:27], v[52:53], off offset:768
	global_load_dwordx4 v[28:31], v[52:53], off offset:1888
	global_load_dwordx4 v[0:3], v[52:53], off offset:3008
.LBB0_12:
	s_or_b64 exec, exec, s[6:7]
	v_mov_b32_e32 v48, v49
.LBB0_13:
	s_or_b64 exec, exec, s[4:5]
	s_waitcnt vmcnt(9)
	v_add_f64 v[56:57], v[8:9], v[4:5]
	v_add_f64 v[58:59], v[10:11], v[6:7]
	s_waitcnt vmcnt(0)
	v_add_f64 v[50:51], v[0:1], v[8:9]
	s_mov_b32 s4, 0x8764f0ba
	s_mov_b32 s5, 0x3feaeb8c
	v_add_f64 v[101:102], v[24:25], v[32:33]
	v_add_f64 v[103:104], v[32:33], -v[24:25]
	v_add_f64 v[60:61], v[34:35], -v[26:27]
	v_add_f64 v[64:65], v[12:13], v[56:57]
	v_add_f64 v[66:67], v[14:15], v[58:59]
	;; [unrolled: 1-line block ×3, first 2 shown]
	v_add_f64 v[105:106], v[8:9], -v[0:1]
	v_add_f64 v[68:69], v[10:11], -v[2:3]
	v_add_f64 v[107:108], v[28:29], v[12:13]
	s_mov_b32 s6, 0xf8bb580b
	s_mov_b32 s16, 0xd9c712b6
	v_add_f64 v[32:33], v[32:33], v[64:65]
	v_add_f64 v[34:35], v[34:35], v[66:67]
	v_mul_f64 v[66:67], v[50:51], s[4:5]
	s_mov_b32 s7, 0xbfe14ced
	s_mov_b32 s17, 0x3fda9628
	v_add_f64 v[64:65], v[2:3], v[10:11]
	v_add_f64 v[109:110], v[12:13], -v[28:29]
	v_add_f64 v[72:73], v[14:15], -v[30:31]
	v_add_f64 v[8:9], v[40:41], v[32:33]
	v_add_f64 v[10:11], v[42:43], v[34:35]
	v_mul_f64 v[80:81], v[105:106], s[6:7]
	v_mul_f64 v[74:75], v[107:108], s[16:17]
	v_fma_f64 v[12:13], v[68:69], s[6:7], v[66:67]
	s_mov_b32 s14, 0x8eee2c13
	s_mov_b32 s8, 0x640f44db
	;; [unrolled: 1-line block ×4, first 2 shown]
	v_add_f64 v[62:63], v[36:37], v[40:41]
	v_add_f64 v[97:98], v[20:21], v[16:17]
	v_add_f64 v[99:100], v[16:17], -v[20:21]
	v_add_f64 v[70:71], v[30:31], v[14:15]
	v_add_f64 v[8:9], v[16:17], v[8:9]
	;; [unrolled: 1-line block ×3, first 2 shown]
	v_mul_f64 v[78:79], v[109:110], s[14:15]
	v_mul_f64 v[76:77], v[101:102], s[8:9]
	v_fma_f64 v[14:15], v[64:65], s[4:5], -v[80:81]
	v_fma_f64 v[16:17], v[72:73], s[14:15], v[74:75]
	v_add_f64 v[12:13], v[4:5], v[12:13]
	s_mov_b32 s18, 0x43842ef
	s_mov_b32 s20, 0x7f775887
	;; [unrolled: 1-line block ×4, first 2 shown]
	v_add_f64 v[54:55], v[42:43], -v[38:39]
	v_add_f64 v[8:9], v[20:21], v[8:9]
	v_add_f64 v[10:11], v[22:23], v[10:11]
	v_mul_f64 v[82:83], v[103:104], s[18:19]
	v_fma_f64 v[20:21], v[70:71], s[16:17], -v[78:79]
	v_add_f64 v[14:15], v[6:7], v[14:15]
	v_fma_f64 v[32:33], v[60:61], s[18:19], v[76:77]
	v_add_f64 v[12:13], v[16:17], v[12:13]
	v_mul_f64 v[84:85], v[62:63], s[20:21]
	s_mov_b32 s22, 0xbb3a28a1
	s_mov_b32 s23, 0xbfe82f19
	v_add_f64 v[56:57], v[22:23], v[18:19]
	v_add_f64 v[8:9], v[36:37], v[8:9]
	;; [unrolled: 1-line block ×3, first 2 shown]
	v_fma_f64 v[16:17], v[58:59], s[8:9], -v[82:83]
	v_add_f64 v[14:15], v[20:21], v[14:15]
	v_add_f64 v[12:13], v[32:33], v[12:13]
	v_fma_f64 v[20:21], v[54:55], s[22:23], v[84:85]
	v_add_f64 v[86:87], v[18:19], -v[22:23]
	v_mul_f64 v[18:19], v[68:69], s[14:15]
	s_mov_b32 s24, 0x9bcd5057
	s_mov_b32 s25, 0xbfeeb42a
	v_add_f64 v[95:96], v[40:41], -v[36:37]
	v_add_f64 v[8:9], v[24:25], v[8:9]
	v_add_f64 v[10:11], v[26:27], v[10:11]
	;; [unrolled: 1-line block ×3, first 2 shown]
	v_mul_f64 v[16:17], v[105:106], s[14:15]
	v_add_f64 v[12:13], v[20:21], v[12:13]
	v_mul_f64 v[88:89], v[97:98], s[24:25]
	v_fma_f64 v[20:21], v[50:51], s[16:17], v[18:19]
	v_mul_f64 v[22:23], v[72:73], s[22:23]
	s_mov_b32 s26, 0xfd768dbf
	s_mov_b32 s27, 0xbfd207e7
	;; [unrolled: 1-line block ×4, first 2 shown]
	v_add_f64 v[52:53], v[38:39], v[42:43]
	v_add_f64 v[8:9], v[28:29], v[8:9]
	;; [unrolled: 1-line block ×3, first 2 shown]
	v_mul_f64 v[90:91], v[95:96], s[22:23]
	v_fma_f64 v[24:25], v[64:65], s[16:17], -v[16:17]
	v_mul_f64 v[26:27], v[109:110], s[22:23]
	v_fma_f64 v[30:31], v[86:87], s[26:27], v[88:89]
	v_add_f64 v[20:21], v[4:5], v[20:21]
	v_fma_f64 v[32:33], v[107:108], s[20:21], v[22:23]
	v_mul_f64 v[36:37], v[60:61], s[28:29]
	v_mul_f64 v[38:39], v[103:104], s[28:29]
	v_fma_f64 v[28:29], v[52:53], s[20:21], -v[90:91]
	v_add_f64 v[24:25], v[6:7], v[24:25]
	v_fma_f64 v[34:35], v[70:71], s[20:21], -v[26:27]
	v_add_f64 v[0:1], v[0:1], v[8:9]
	v_add_f64 v[8:9], v[30:31], v[12:13]
	;; [unrolled: 1-line block ×3, first 2 shown]
	v_fma_f64 v[20:21], v[101:102], s[24:25], v[36:37]
	v_fma_f64 v[18:19], v[50:51], s[16:17], -v[18:19]
	s_mov_b32 s31, 0x3fefac9e
	s_mov_b32 s30, s18
	v_add_f64 v[2:3], v[2:3], v[10:11]
	v_add_f64 v[10:11], v[28:29], v[14:15]
	;; [unrolled: 1-line block ×3, first 2 shown]
	v_fma_f64 v[24:25], v[58:59], s[24:25], -v[38:39]
	v_mul_f64 v[28:29], v[54:55], s[30:31]
	v_mul_f64 v[30:31], v[95:96], s[30:31]
	v_add_f64 v[12:13], v[20:21], v[12:13]
	v_add_f64 v[18:19], v[4:5], v[18:19]
	v_fma_f64 v[20:21], v[107:108], s[20:21], -v[22:23]
	v_fma_f64 v[16:17], v[64:65], s[16:17], v[16:17]
	s_mov_b32 s1, 0x3fe14ced
	s_mov_b32 s0, s6
	v_mul_f64 v[92:93], v[99:100], s[26:27]
	v_add_f64 v[14:15], v[24:25], v[14:15]
	v_fma_f64 v[22:23], v[62:63], s[8:9], v[28:29]
	v_fma_f64 v[24:25], v[52:53], s[8:9], -v[30:31]
	v_mul_f64 v[32:33], v[86:87], s[0:1]
	v_mul_f64 v[34:35], v[99:100], s[0:1]
	v_add_f64 v[18:19], v[20:21], v[18:19]
	v_add_f64 v[16:17], v[6:7], v[16:17]
	v_fma_f64 v[20:21], v[70:71], s[20:21], v[26:27]
	v_fma_f64 v[26:27], v[101:102], s[24:25], -v[36:37]
	v_fma_f64 v[36:37], v[56:57], s[24:25], -v[92:93]
	v_add_f64 v[12:13], v[22:23], v[12:13]
	v_add_f64 v[14:15], v[24:25], v[14:15]
	v_fma_f64 v[22:23], v[97:98], s[4:5], v[32:33]
	v_fma_f64 v[24:25], v[56:57], s[4:5], -v[34:35]
	v_mul_f64 v[40:41], v[68:69], s[18:19]
	v_add_f64 v[16:17], v[20:21], v[16:17]
	v_add_f64 v[18:19], v[26:27], v[18:19]
	v_fma_f64 v[20:21], v[58:59], s[24:25], v[38:39]
	v_fma_f64 v[26:27], v[62:63], s[8:9], -v[28:29]
	v_mul_f64 v[28:29], v[105:106], s[18:19]
	v_add_f64 v[10:11], v[36:37], v[10:11]
	v_add_f64 v[12:13], v[22:23], v[12:13]
	v_fma_f64 v[22:23], v[50:51], s[8:9], v[40:41]
	v_mul_f64 v[36:37], v[72:73], s[28:29]
	v_add_f64 v[14:15], v[24:25], v[14:15]
	v_add_f64 v[16:17], v[20:21], v[16:17]
	v_mul_f64 v[24:25], v[109:110], s[28:29]
	v_fma_f64 v[20:21], v[64:65], s[8:9], -v[28:29]
	s_mov_b32 s29, 0x3fed1bb4
	s_mov_b32 s28, s14
	v_add_f64 v[18:19], v[26:27], v[18:19]
	v_fma_f64 v[26:27], v[52:53], s[8:9], v[30:31]
	v_add_f64 v[22:23], v[4:5], v[22:23]
	v_fma_f64 v[30:31], v[107:108], s[24:25], v[36:37]
	v_mul_f64 v[38:39], v[60:61], s[28:29]
	v_add_f64 v[20:21], v[6:7], v[20:21]
	v_fma_f64 v[42:43], v[70:71], s[24:25], -v[24:25]
	v_mul_f64 v[111:112], v[103:104], s[28:29]
	v_mul_f64 v[113:114], v[54:55], s[6:7]
	v_add_f64 v[16:17], v[26:27], v[16:17]
	v_fma_f64 v[26:27], v[97:98], s[4:5], -v[32:33]
	v_fma_f64 v[32:33], v[56:57], s[4:5], v[34:35]
	v_add_f64 v[30:31], v[30:31], v[22:23]
	v_fma_f64 v[34:35], v[101:102], s[16:17], v[38:39]
	v_add_f64 v[42:43], v[42:43], v[20:21]
	v_fma_f64 v[115:116], v[58:59], s[16:17], -v[111:112]
	v_mul_f64 v[117:118], v[95:96], s[6:7]
	v_fma_f64 v[28:29], v[64:65], s[8:9], v[28:29]
	v_add_f64 v[20:21], v[26:27], v[18:19]
	v_add_f64 v[22:23], v[32:33], v[16:17]
	v_fma_f64 v[16:17], v[50:51], s[8:9], -v[40:41]
	v_add_f64 v[18:19], v[34:35], v[30:31]
	v_fma_f64 v[26:27], v[62:63], s[4:5], v[113:114]
	v_add_f64 v[30:31], v[115:116], v[42:43]
	v_fma_f64 v[32:33], v[52:53], s[4:5], -v[117:118]
	v_mul_f64 v[34:35], v[86:87], s[22:23]
	v_mul_f64 v[40:41], v[99:100], s[22:23]
	v_fma_f64 v[36:37], v[107:108], s[24:25], -v[36:37]
	v_add_f64 v[16:17], v[4:5], v[16:17]
	v_fma_f64 v[24:25], v[70:71], s[24:25], v[24:25]
	v_add_f64 v[18:19], v[26:27], v[18:19]
	v_add_f64 v[26:27], v[6:7], v[28:29]
	;; [unrolled: 1-line block ×3, first 2 shown]
	v_fma_f64 v[30:31], v[97:98], s[20:21], v[34:35]
	v_fma_f64 v[32:33], v[56:57], s[20:21], -v[40:41]
	v_mul_f64 v[42:43], v[68:69], s[22:23]
	v_add_f64 v[36:37], v[36:37], v[16:17]
	v_fma_f64 v[38:39], v[101:102], s[16:17], -v[38:39]
	v_mul_f64 v[115:116], v[105:106], s[22:23]
	v_add_f64 v[24:25], v[24:25], v[26:27]
	v_fma_f64 v[26:27], v[58:59], s[16:17], v[111:112]
	v_add_f64 v[16:17], v[30:31], v[18:19]
	v_add_f64 v[18:19], v[32:33], v[28:29]
	v_fma_f64 v[28:29], v[50:51], s[20:21], v[42:43]
	v_mul_f64 v[30:31], v[72:73], s[30:31]
	v_add_f64 v[32:33], v[38:39], v[36:37]
	v_fma_f64 v[111:112], v[52:53], s[4:5], v[117:118]
	v_mul_f64 v[117:118], v[60:61], s[6:7]
	v_add_f64 v[24:25], v[26:27], v[24:25]
	v_fma_f64 v[26:27], v[62:63], s[4:5], -v[113:114]
	v_fma_f64 v[36:37], v[64:65], s[20:21], -v[115:116]
	v_add_f64 v[28:29], v[4:5], v[28:29]
	v_fma_f64 v[113:114], v[107:108], s[8:9], v[30:31]
	v_mul_f64 v[38:39], v[109:110], s[30:31]
	v_fma_f64 v[42:43], v[50:51], s[20:21], -v[42:43]
	v_fma_f64 v[115:116], v[64:65], s[20:21], v[115:116]
	v_mul_f64 v[121:122], v[103:104], s[6:7]
	v_add_f64 v[26:27], v[26:27], v[32:33]
	v_add_f64 v[32:33], v[111:112], v[24:25]
	v_fma_f64 v[24:25], v[97:98], s[20:21], -v[34:35]
	v_add_f64 v[28:29], v[113:114], v[28:29]
	v_fma_f64 v[34:35], v[101:102], s[4:5], v[117:118]
	v_mul_f64 v[113:114], v[54:55], s[26:27]
	v_add_f64 v[36:37], v[6:7], v[36:37]
	v_fma_f64 v[119:120], v[70:71], s[8:9], -v[38:39]
	v_fma_f64 v[40:41], v[56:57], s[20:21], v[40:41]
	v_fma_f64 v[30:31], v[107:108], s[8:9], -v[30:31]
	v_add_f64 v[115:116], v[6:7], v[115:116]
	v_fma_f64 v[38:39], v[70:71], s[8:9], v[38:39]
	v_add_f64 v[28:29], v[34:35], v[28:29]
	v_add_f64 v[34:35], v[4:5], v[42:43]
	v_fma_f64 v[42:43], v[62:63], s[24:25], v[113:114]
	v_add_f64 v[36:37], v[119:120], v[36:37]
	v_mul_f64 v[119:120], v[95:96], s[26:27]
	v_add_f64 v[24:25], v[24:25], v[26:27]
	v_add_f64 v[26:27], v[40:41], v[32:33]
	v_fma_f64 v[32:33], v[101:102], s[4:5], -v[117:118]
	v_add_f64 v[38:39], v[38:39], v[115:116]
	v_add_f64 v[30:31], v[30:31], v[34:35]
	v_add_f64 v[28:29], v[42:43], v[28:29]
	v_fma_f64 v[42:43], v[58:59], s[4:5], v[121:122]
	v_mul_f64 v[40:41], v[68:69], s[26:27]
	v_mul_f64 v[105:106], v[105:106], s[26:27]
	;; [unrolled: 1-line block ×4, first 2 shown]
	v_fma_f64 v[111:112], v[58:59], s[4:5], -v[121:122]
	v_add_f64 v[30:31], v[32:33], v[30:31]
	v_fma_f64 v[32:33], v[62:63], s[24:25], -v[113:114]
	v_add_f64 v[38:39], v[42:43], v[38:39]
	v_fma_f64 v[42:43], v[52:53], s[24:25], v[119:120]
	v_fma_f64 v[115:116], v[50:51], s[24:25], v[40:41]
	v_fma_f64 v[40:41], v[50:51], s[24:25], -v[40:41]
	v_fma_f64 v[121:122], v[107:108], s[4:5], v[117:118]
	v_mul_f64 v[123:124], v[60:61], s[22:23]
	v_fma_f64 v[50:51], v[70:71], s[4:5], -v[109:110]
	v_add_f64 v[32:33], v[32:33], v[30:31]
	v_fma_f64 v[30:31], v[64:65], s[24:25], -v[105:106]
	v_add_f64 v[38:39], v[42:43], v[38:39]
	v_fma_f64 v[42:43], v[64:65], s[24:25], v[105:106]
	v_add_f64 v[115:116], v[4:5], v[115:116]
	v_mul_f64 v[103:104], v[103:104], s[22:23]
	v_fma_f64 v[107:108], v[107:108], s[4:5], -v[117:118]
	v_add_f64 v[40:41], v[4:5], v[40:41]
	v_fma_f64 v[109:110], v[70:71], s[4:5], v[109:110]
	v_add_f64 v[30:31], v[6:7], v[30:31]
	v_add_f64 v[36:37], v[111:112], v[36:37]
	;; [unrolled: 1-line block ×3, first 2 shown]
	v_fma_f64 v[111:112], v[52:53], s[24:25], -v[119:120]
	v_add_f64 v[105:106], v[121:122], v[115:116]
	v_fma_f64 v[115:116], v[101:102], s[20:21], v[123:124]
	v_mul_f64 v[117:118], v[54:55], s[28:29]
	v_mul_f64 v[95:96], v[95:96], s[28:29]
	v_add_f64 v[30:31], v[50:51], v[30:31]
	v_fma_f64 v[50:51], v[58:59], s[20:21], -v[103:104]
	v_add_f64 v[40:41], v[107:108], v[40:41]
	v_fma_f64 v[101:102], v[101:102], s[20:21], -v[123:124]
	v_add_f64 v[42:43], v[109:110], v[42:43]
	v_fma_f64 v[103:104], v[58:59], s[20:21], v[103:104]
	v_add_f64 v[34:35], v[111:112], v[36:37]
	v_mul_f64 v[36:37], v[86:87], s[28:29]
	v_mul_f64 v[111:112], v[99:100], s[28:29]
	v_add_f64 v[105:106], v[115:116], v[105:106]
	v_add_f64 v[30:31], v[50:51], v[30:31]
	v_fma_f64 v[50:51], v[62:63], s[16:17], v[117:118]
	v_fma_f64 v[107:108], v[52:53], s[16:17], -v[95:96]
	v_mul_f64 v[99:100], v[99:100], s[18:19]
	v_mul_f64 v[109:110], v[86:87], s[18:19]
	v_add_f64 v[40:41], v[101:102], v[40:41]
	v_fma_f64 v[62:63], v[62:63], s[16:17], -v[117:118]
	v_add_f64 v[42:43], v[103:104], v[42:43]
	v_fma_f64 v[95:96], v[52:53], s[16:17], v[95:96]
	v_fma_f64 v[113:114], v[97:98], s[16:17], v[36:37]
	v_fma_f64 v[119:120], v[56:57], s[16:17], -v[111:112]
	v_fma_f64 v[36:37], v[97:98], s[16:17], -v[36:37]
	v_fma_f64 v[101:102], v[56:57], s[16:17], v[111:112]
	v_add_f64 v[50:51], v[50:51], v[105:106]
	v_add_f64 v[103:104], v[107:108], v[30:31]
	v_fma_f64 v[105:106], v[97:98], s[8:9], v[109:110]
	v_fma_f64 v[107:108], v[56:57], s[8:9], -v[99:100]
	v_add_f64 v[62:63], v[62:63], v[40:41]
	v_add_f64 v[95:96], v[95:96], v[42:43]
	v_fma_f64 v[97:98], v[97:98], s[8:9], -v[109:110]
	v_fma_f64 v[99:100], v[56:57], s[8:9], v[99:100]
	v_add_f64 v[28:29], v[113:114], v[28:29]
	v_add_f64 v[30:31], v[119:120], v[34:35]
	;; [unrolled: 1-line block ×8, first 2 shown]
	v_and_b32_e32 v50, 1, v94
	v_mov_b32_e32 v51, 0x302
	v_cmp_eq_u32_e64 s[0:1], 1, v50
	v_cndmask_b32_e64 v50, 0, v51, s[0:1]
	s_movk_i32 s0, 0x46
	v_cmp_gt_u32_e64 s[0:1], s0, v49
	v_lshlrev_b32_e32 v50, 4, v50
	s_and_saveexec_b64 s[28:29], s[0:1]
	s_cbranch_execz .LBB0_15
; %bb.14:
	v_mul_f64 v[62:63], v[64:65], s[4:5]
	v_mul_f64 v[64:65], v[68:69], s[6:7]
	;; [unrolled: 1-line block ×8, first 2 shown]
	v_add_f64 v[62:63], v[62:63], v[80:81]
	v_add_f64 v[64:65], v[66:67], -v[64:65]
	v_add_f64 v[66:67], v[68:69], v[78:79]
	v_add_f64 v[68:69], v[74:75], -v[70:71]
	v_add_f64 v[60:61], v[76:77], -v[60:61]
	v_add_f64 v[58:59], v[58:59], v[82:83]
	v_mul_f64 v[56:57], v[56:57], s[24:25]
	v_add_f64 v[51:52], v[51:52], v[90:91]
	v_add_f64 v[6:7], v[6:7], v[62:63]
	;; [unrolled: 1-line block ×3, first 2 shown]
	v_mul_f64 v[62:63], v[86:87], s[26:27]
	v_add_f64 v[53:54], v[84:85], -v[54:55]
	v_add_f64 v[55:56], v[56:57], v[92:93]
	v_add_f64 v[6:7], v[66:67], v[6:7]
	;; [unrolled: 1-line block ×5, first 2 shown]
	v_add_f64 v[57:58], v[88:89], -v[62:63]
	v_add_f64 v[6:7], v[51:52], v[6:7]
	v_add_f64 v[4:5], v[53:54], v[4:5]
	v_mul_u32_u24_e32 v51, 0xb0, v49
	v_add3_u32 v51, 0, v51, v50
	ds_write_b128 v51, v[0:3]
	ds_write_b128 v51, v[8:11] offset:16
	v_add_f64 v[6:7], v[55:56], v[6:7]
	v_add_f64 v[4:5], v[57:58], v[4:5]
	ds_write_b128 v51, v[12:15] offset:32
	ds_write_b128 v51, v[16:19] offset:48
	;; [unrolled: 1-line block ×9, first 2 shown]
.LBB0_15:
	s_or_b64 exec, exec, s[28:29]
	s_movk_i32 s0, 0x4d
	v_cmp_gt_u32_e64 s[0:1], s0, v49
	v_lshlrev_b32_e32 v4, 4, v49
	s_waitcnt lgkmcnt(0)
	s_barrier
	s_and_saveexec_b64 s[4:5], s[0:1]
	s_cbranch_execz .LBB0_17
; %bb.16:
	v_add3_u32 v0, 0, v50, v4
	v_add3_u32 v5, 0, v4, v50
	ds_read_b128 v[0:3], v0
	ds_read_b128 v[8:11], v5 offset:1232
	ds_read_b128 v[12:15], v5 offset:2464
	;; [unrolled: 1-line block ×9, first 2 shown]
.LBB0_17:
	s_or_b64 exec, exec, s[4:5]
	s_waitcnt lgkmcnt(0)
	s_barrier
	s_and_saveexec_b64 s[4:5], s[0:1]
	s_cbranch_execz .LBB0_19
; %bb.18:
	s_movk_i32 s0, 0x75
	v_mul_lo_u16_sdwa v5, v49, s0 dst_sel:DWORD dst_unused:UNUSED_PAD src0_sel:BYTE_0 src1_sel:DWORD
	v_sub_u16_sdwa v6, v49, v5 dst_sel:DWORD dst_unused:UNUSED_PAD src0_sel:DWORD src1_sel:BYTE_1
	v_lshrrev_b16_e32 v6, 1, v6
	v_and_b32_e32 v6, 0x7f, v6
	v_add_u16_sdwa v5, v6, v5 dst_sel:DWORD dst_unused:UNUSED_PAD src0_sel:DWORD src1_sel:BYTE_1
	v_lshrrev_b16_e32 v5, 3, v5
	v_mul_lo_u16_e32 v6, 11, v5
	v_sub_u16_e32 v6, v49, v6
	v_mov_b32_e32 v7, 9
	v_mul_u32_u24_sdwa v7, v6, v7 dst_sel:DWORD dst_unused:UNUSED_PAD src0_sel:BYTE_0 src1_sel:DWORD
	v_lshlrev_b32_e32 v7, 4, v7
	global_load_dwordx4 v[51:54], v7, s[12:13] offset:16
	global_load_dwordx4 v[55:58], v7, s[12:13] offset:48
	;; [unrolled: 1-line block ×8, first 2 shown]
	global_load_dwordx4 v[83:86], v7, s[12:13]
	s_mov_b32 s0, 0x134454ff
	s_mov_b32 s1, 0xbfee6f0e
	;; [unrolled: 1-line block ×16, first 2 shown]
	s_waitcnt vmcnt(8)
	v_mul_f64 v[87:88], v[12:13], v[53:54]
	s_waitcnt vmcnt(7)
	v_mul_f64 v[89:90], v[28:29], v[57:58]
	;; [unrolled: 2-line block ×8, first 2 shown]
	v_mul_f64 v[73:74], v[32:33], v[73:74]
	v_mul_f64 v[81:82], v[40:41], v[81:82]
	v_mul_f64 v[69:70], v[16:17], v[69:70]
	v_mul_f64 v[77:78], v[20:21], v[77:78]
	v_mul_f64 v[53:54], v[14:15], v[53:54]
	v_mul_f64 v[61:62], v[26:27], v[61:62]
	v_mul_f64 v[57:58], v[30:31], v[57:58]
	v_mul_f64 v[65:66], v[38:39], v[65:66]
	s_waitcnt vmcnt(0)
	v_mul_f64 v[103:104], v[10:11], v[85:86]
	v_mul_f64 v[85:86], v[8:9], v[85:86]
	v_fma_f64 v[14:15], v[14:15], v[51:52], -v[87:88]
	v_fma_f64 v[30:31], v[30:31], v[55:56], -v[89:90]
	;; [unrolled: 1-line block ×4, first 2 shown]
	v_fma_f64 v[16:17], v[16:17], v[67:68], v[95:96]
	v_fma_f64 v[32:33], v[32:33], v[71:72], v[97:98]
	;; [unrolled: 1-line block ×4, first 2 shown]
	v_fma_f64 v[34:35], v[34:35], v[71:72], -v[73:74]
	v_fma_f64 v[42:43], v[42:43], v[79:80], -v[81:82]
	;; [unrolled: 1-line block ×4, first 2 shown]
	v_fma_f64 v[12:13], v[12:13], v[51:52], v[53:54]
	v_fma_f64 v[24:25], v[24:25], v[59:60], v[61:62]
	;; [unrolled: 1-line block ×5, first 2 shown]
	v_fma_f64 v[9:10], v[10:11], v[83:84], -v[85:86]
	v_add_f64 v[51:52], v[14:15], -v[30:31]
	v_add_f64 v[53:54], v[26:27], -v[38:39]
	v_add_f64 v[55:56], v[30:31], v[38:39]
	v_add_f64 v[61:62], v[16:17], -v[32:33]
	v_add_f64 v[63:64], v[20:21], -v[40:41]
	v_add_f64 v[67:68], v[32:33], v[40:41]
	v_add_f64 v[75:76], v[34:35], v[42:43]
	;; [unrolled: 1-line block ×4, first 2 shown]
	v_add_f64 v[59:60], v[28:29], -v[36:37]
	v_add_f64 v[71:72], v[18:19], -v[34:35]
	;; [unrolled: 1-line block ×6, first 2 shown]
	v_add_f64 v[91:92], v[16:17], v[20:21]
	v_add_f64 v[99:100], v[2:3], v[14:15]
	;; [unrolled: 1-line block ×3, first 2 shown]
	v_fma_f64 v[53:54], v[55:56], -0.5, v[2:3]
	v_add_f64 v[55:56], v[61:62], v[63:64]
	v_fma_f64 v[61:62], v[67:68], -0.5, v[7:8]
	v_fma_f64 v[67:68], v[75:76], -0.5, v[9:10]
	;; [unrolled: 1-line block ×3, first 2 shown]
	v_add_f64 v[69:70], v[18:19], -v[22:23]
	v_add_f64 v[79:80], v[32:33], -v[40:41]
	;; [unrolled: 1-line block ×3, first 2 shown]
	v_add_f64 v[18:19], v[9:10], v[18:19]
	v_fma_f64 v[9:10], v[97:98], -0.5, v[9:10]
	v_add_f64 v[57:58], v[12:13], -v[24:25]
	v_add_f64 v[81:82], v[30:31], -v[14:15]
	;; [unrolled: 1-line block ×3, first 2 shown]
	v_add_f64 v[63:64], v[71:72], v[73:74]
	v_add_f64 v[73:74], v[87:88], v[89:90]
	v_fma_f64 v[75:76], v[91:92], -0.5, v[7:8]
	v_fma_f64 v[87:88], v[77:78], s[0:1], v[67:68]
	v_fma_f64 v[91:92], v[59:60], s[16:17], v[2:3]
	;; [unrolled: 1-line block ×4, first 2 shown]
	v_add_f64 v[65:66], v[34:35], -v[42:43]
	v_add_f64 v[95:96], v[42:43], -v[22:23]
	v_fma_f64 v[89:90], v[79:80], s[16:17], v[9:10]
	v_fma_f64 v[9:10], v[79:80], s[0:1], v[9:10]
	v_add_f64 v[105:106], v[30:31], -v[38:39]
	v_add_f64 v[71:72], v[81:82], v[83:84]
	v_add_f64 v[30:31], v[99:100], v[30:31]
	v_fma_f64 v[83:84], v[57:58], s[0:1], v[53:54]
	v_fma_f64 v[85:86], v[69:70], s[16:17], v[61:62]
	;; [unrolled: 1-line block ×7, first 2 shown]
	v_add_f64 v[107:108], v[28:29], v[36:37]
	v_add_f64 v[81:82], v[93:94], v[95:96]
	v_fma_f64 v[93:94], v[65:66], s[0:1], v[75:76]
	v_fma_f64 v[75:76], v[65:66], s[16:17], v[75:76]
	;; [unrolled: 1-line block ×3, first 2 shown]
	v_add_f64 v[30:31], v[30:31], v[38:39]
	v_fma_f64 v[38:39], v[59:60], s[8:9], v[83:84]
	v_fma_f64 v[83:84], v[65:66], s[14:15], v[85:86]
	;; [unrolled: 1-line block ×4, first 2 shown]
	v_add_f64 v[14:15], v[14:15], -v[26:27]
	v_add_f64 v[18:19], v[18:19], v[34:35]
	v_fma_f64 v[34:35], v[107:108], -0.5, v[0:1]
	v_fma_f64 v[87:88], v[79:80], s[8:9], v[87:88]
	v_fma_f64 v[85:86], v[69:70], s[14:15], v[93:94]
	;; [unrolled: 1-line block ×4, first 2 shown]
	v_add_f64 v[109:110], v[12:13], v[24:25]
	v_fma_f64 v[67:68], v[55:56], s[6:7], v[83:84]
	v_fma_f64 v[53:54], v[59:60], s[14:15], v[53:54]
	;; [unrolled: 1-line block ×3, first 2 shown]
	v_mul_f64 v[61:62], v[57:58], s[22:23]
	v_fma_f64 v[89:90], v[77:78], s[8:9], v[89:90]
	v_fma_f64 v[87:88], v[63:64], s[6:7], v[87:88]
	;; [unrolled: 1-line block ×4, first 2 shown]
	v_mul_f64 v[69:70], v[65:66], s[6:7]
	v_fma_f64 v[73:74], v[14:15], s[16:17], v[34:35]
	v_add_f64 v[18:19], v[18:19], v[42:43]
	v_fma_f64 v[38:39], v[51:52], s[6:7], v[38:39]
	v_fma_f64 v[51:52], v[51:52], s[6:7], v[53:54]
	;; [unrolled: 1-line block ×3, first 2 shown]
	v_add_f64 v[61:62], v[30:31], v[26:27]
	v_fma_f64 v[30:31], v[109:110], -0.5, v[0:1]
	v_add_f64 v[0:1], v[0:1], v[12:13]
	v_add_f64 v[7:8], v[7:8], v[16:17]
	v_mul_f64 v[79:80], v[87:88], s[18:19]
	v_fma_f64 v[42:43], v[59:60], s[16:17], v[69:70]
	v_fma_f64 v[69:70], v[105:106], s[14:15], v[73:74]
	v_add_f64 v[73:74], v[18:19], v[22:23]
	v_mul_f64 v[18:19], v[87:88], s[8:9]
	v_add_f64 v[101:102], v[12:13], -v[28:29]
	v_add_f64 v[0:1], v[0:1], v[28:29]
	v_add_f64 v[7:8], v[7:8], v[32:33]
	v_add_f64 v[103:104], v[24:25], -v[36:37]
	v_fma_f64 v[89:90], v[81:82], s[6:7], v[89:90]
	v_fma_f64 v[75:76], v[67:68], s[14:15], v[79:80]
	v_add_f64 v[22:23], v[28:29], -v[12:13]
	v_add_f64 v[81:82], v[36:37], -v[24:25]
	v_fma_f64 v[11:12], v[105:106], s[0:1], v[30:31]
	v_fma_f64 v[16:17], v[105:106], s[16:17], v[30:31]
	;; [unrolled: 1-line block ×4, first 2 shown]
	v_mul_f64 v[30:31], v[57:58], s[8:9]
	v_add_f64 v[0:1], v[0:1], v[36:37]
	v_add_f64 v[7:8], v[7:8], v[40:41]
	v_mul_f64 v[83:84], v[89:90], s[20:21]
	v_add_f64 v[26:27], v[101:102], v[103:104]
	v_add_f64 v[22:23], v[22:23], v[81:82]
	v_fma_f64 v[11:12], v[14:15], s[14:15], v[11:12]
	v_mul_f64 v[28:29], v[89:90], s[0:1]
	v_fma_f64 v[13:14], v[14:15], s[8:9], v[16:17]
	v_fma_f64 v[17:18], v[105:106], s[8:9], v[18:19]
	v_mul_f64 v[15:16], v[65:66], s[0:1]
	v_fma_f64 v[63:64], v[71:72], s[6:7], v[91:92]
	v_fma_f64 v[71:72], v[71:72], s[6:7], v[2:3]
	;; [unrolled: 1-line block ×3, first 2 shown]
	v_add_f64 v[55:56], v[0:1], v[24:25]
	v_add_f64 v[81:82], v[7:8], v[20:21]
	v_fma_f64 v[79:80], v[77:78], s[16:17], v[83:84]
	v_fma_f64 v[35:36], v[22:23], s[6:7], v[11:12]
	;; [unrolled: 1-line block ×7, first 2 shown]
	v_add_f64 v[2:3], v[38:39], -v[75:76]
	v_add_f64 v[13:14], v[71:72], -v[42:43]
	v_add_f64 v[25:26], v[38:39], v[75:76]
	v_add_f64 v[33:34], v[71:72], v[42:43]
	;; [unrolled: 1-line block ×4, first 2 shown]
	v_add_f64 v[7:8], v[35:36], -v[57:58]
	v_add_f64 v[37:38], v[51:52], v[53:54]
	v_add_f64 v[27:28], v[35:36], v[57:58]
	v_add_f64 v[35:36], v[77:78], v[31:32]
	v_add_f64 v[15:16], v[77:78], -v[31:32]
	v_add_f64 v[31:32], v[65:66], v[59:60]
	v_add_f64 v[29:30], v[63:64], v[79:80]
	;; [unrolled: 1-line block ×3, first 2 shown]
	v_add_f64 v[21:22], v[61:62], -v[73:74]
	v_add_f64 v[19:20], v[55:56], -v[81:82]
	s_movk_i32 s0, 0x6e0
	v_mov_b32_e32 v43, 4
	v_add_f64 v[17:18], v[51:52], -v[53:54]
	v_mad_u32_u24 v5, v5, s0, 0
	v_lshlrev_b32_sdwa v6, v43, v6 dst_sel:DWORD dst_unused:UNUSED_PAD src0_sel:DWORD src1_sel:BYTE_0
	v_add_f64 v[11:12], v[65:66], -v[59:60]
	v_add3_u32 v5, v5, v6, v50
	v_add_f64 v[9:10], v[63:64], -v[79:80]
	v_add_f64 v[0:1], v[69:70], -v[67:68]
	ds_write_b128 v5, v[39:42]
	ds_write_b128 v5, v[35:38] offset:176
	ds_write_b128 v5, v[31:34] offset:352
	;; [unrolled: 1-line block ×9, first 2 shown]
.LBB0_19:
	s_or_b64 exec, exec, s[4:5]
	s_waitcnt lgkmcnt(0)
	s_barrier
	s_and_saveexec_b64 s[0:1], vcc
	s_cbranch_execz .LBB0_21
; %bb.20:
	v_mul_u32_u24_e32 v0, 6, v49
	v_lshlrev_b32_e32 v25, 4, v0
	global_load_dwordx4 v[0:3], v25, s[12:13] offset:1632
	global_load_dwordx4 v[5:8], v25, s[12:13] offset:1616
	;; [unrolled: 1-line block ×6, first 2 shown]
	v_mul_lo_u32 v43, s3, v46
	v_mad_u64_u32 v[41:42], s[0:1], s2, v46, 0
	v_add3_u32 v46, 0, v4, v50
	v_add3_u32 v69, 0, v50, v4
	ds_read_b128 v[25:28], v46 offset:7040
	ds_read_b128 v[29:32], v46 offset:5280
	;; [unrolled: 1-line block ×6, first 2 shown]
	v_mul_lo_u32 v68, s2, v47
	s_mov_b32 s4, 0xe976ee23
	s_mov_b32 s12, 0x37e14327
	;; [unrolled: 1-line block ×16, first 2 shown]
	v_add3_u32 v42, v42, v68, v43
	v_mov_b32_e32 v49, 0
	s_waitcnt vmcnt(5) lgkmcnt(5)
	v_mul_f64 v[46:47], v[2:3], v[27:28]
	s_waitcnt vmcnt(4) lgkmcnt(4)
	v_mul_f64 v[58:59], v[7:8], v[31:32]
	;; [unrolled: 2-line block ×4, first 2 shown]
	s_waitcnt vmcnt(1)
	v_mul_f64 v[64:65], v[19:20], v[39:40]
	s_waitcnt vmcnt(0) lgkmcnt(0)
	v_mul_f64 v[66:67], v[23:24], v[56:57]
	v_mul_f64 v[7:8], v[29:30], v[7:8]
	;; [unrolled: 1-line block ×7, first 2 shown]
	v_fma_f64 v[25:26], v[0:1], v[25:26], v[46:47]
	v_fma_f64 v[29:30], v[5:6], v[29:30], v[58:59]
	;; [unrolled: 1-line block ×6, first 2 shown]
	v_fma_f64 v[4:5], v[5:6], v[31:32], -v[7:8]
	v_fma_f64 v[8:9], v[9:10], v[35:36], -v[11:12]
	v_fma_f64 v[10:11], v[13:14], v[52:53], -v[15:16]
	v_fma_f64 v[12:13], v[17:18], v[39:40], -v[19:20]
	v_fma_f64 v[14:15], v[21:22], v[56:57], -v[23:24]
	v_fma_f64 v[6:7], v[0:1], v[27:28], -v[2:3]
	v_add_f64 v[16:17], v[25:26], -v[29:30]
	v_add_f64 v[18:19], v[33:34], -v[46:47]
	v_add_f64 v[24:25], v[25:26], v[29:30]
	v_add_f64 v[29:30], v[33:34], v[46:47]
	;; [unrolled: 1-line block ×6, first 2 shown]
	v_add_f64 v[4:5], v[6:7], -v[4:5]
	v_add_f64 v[6:7], v[8:9], -v[10:11]
	;; [unrolled: 1-line block ×5, first 2 shown]
	v_add_f64 v[50:51], v[29:30], v[33:34]
	v_add_f64 v[37:38], v[27:28], v[31:32]
	v_add_f64 v[35:36], v[31:32], -v[22:23]
	v_add_f64 v[10:11], v[16:17], v[18:19]
	v_add_f64 v[54:55], v[4:5], -v[6:7]
	v_add_f64 v[14:15], v[20:21], -v[16:17]
	;; [unrolled: 1-line block ×6, first 2 shown]
	v_add_f64 v[22:23], v[22:23], v[37:38]
	v_add_f64 v[24:25], v[24:25], v[50:51]
	;; [unrolled: 1-line block ×3, first 2 shown]
	v_add_f64 v[6:7], v[6:7], -v[8:9]
	ds_read_b128 v[0:3], v69
	v_add_f64 v[4:5], v[8:9], -v[4:5]
	v_add_f64 v[26:27], v[27:28], -v[31:32]
	;; [unrolled: 1-line block ×3, first 2 shown]
	v_mul_f64 v[12:13], v[12:13], s[4:5]
	v_mul_f64 v[30:31], v[35:36], s[12:13]
	;; [unrolled: 1-line block ×5, first 2 shown]
	s_waitcnt lgkmcnt(0)
	v_add_f64 v[2:3], v[2:3], v[22:23]
	v_add_f64 v[0:1], v[0:1], v[24:25]
	;; [unrolled: 1-line block ×3, first 2 shown]
	v_mul_f64 v[20:21], v[16:17], s[6:7]
	v_mul_f64 v[32:33], v[39:40], s[6:7]
	;; [unrolled: 1-line block ×3, first 2 shown]
	v_add_f64 v[8:9], v[52:53], v[8:9]
	v_fma_f64 v[52:53], v[14:15], s[2:3], v[12:13]
	v_fma_f64 v[54:55], v[4:5], s[2:3], v[36:37]
	s_mov_b32 s3, 0x3fd5d0dc
	v_fma_f64 v[16:17], v[16:17], s[6:7], v[30:31]
	v_fma_f64 v[38:39], v[39:40], s[6:7], v[34:35]
	v_fma_f64 v[30:31], v[26:27], s[16:17], -v[30:31]
	v_fma_f64 v[34:35], v[28:29], s[16:17], -v[34:35]
	s_mov_b32 s17, 0x3fe77f67
	v_fma_f64 v[14:15], v[14:15], s[2:3], -v[46:47]
	v_fma_f64 v[22:23], v[22:23], s[8:9], v[2:3]
	v_fma_f64 v[24:25], v[24:25], s[8:9], v[0:1]
	v_fma_f64 v[12:13], v[18:19], s[14:15], -v[12:13]
	v_fma_f64 v[6:7], v[6:7], s[14:15], -v[36:37]
	;; [unrolled: 1-line block ×5, first 2 shown]
	v_fma_f64 v[26:27], v[10:11], s[0:1], v[52:53]
	v_fma_f64 v[28:29], v[8:9], s[0:1], v[54:55]
	;; [unrolled: 1-line block ×3, first 2 shown]
	v_add_f64 v[52:53], v[16:17], v[22:23]
	v_add_f64 v[38:39], v[38:39], v[24:25]
	;; [unrolled: 1-line block ×3, first 2 shown]
	v_fma_f64 v[32:33], v[10:11], s[0:1], v[12:13]
	v_fma_f64 v[36:37], v[8:9], s[0:1], v[6:7]
	;; [unrolled: 1-line block ×3, first 2 shown]
	v_add_f64 v[34:35], v[34:35], v[24:25]
	v_add_f64 v[16:17], v[18:19], v[22:23]
	v_add_f64 v[20:21], v[20:21], v[24:25]
	v_lshlrev_b64 v[40:41], 4, v[41:42]
	v_mov_b32_e32 v56, s11
	v_add_f64 v[6:7], v[26:27], v[52:53]
	v_add_f64 v[4:5], v[38:39], -v[28:29]
	v_add_f64 v[10:11], v[46:47], v[30:31]
	v_add_f64 v[22:23], v[30:31], -v[46:47]
	v_add_f64 v[26:27], v[52:53], -v[26:27]
	v_add_f64 v[24:25], v[28:29], v[38:39]
	v_add_co_u32_e32 v30, vcc, s10, v40
	v_lshlrev_b64 v[28:29], 4, v[44:45]
	v_add_f64 v[14:15], v[16:17], -v[32:33]
	v_add_f64 v[12:13], v[36:37], v[20:21]
	v_add_f64 v[18:19], v[32:33], v[16:17]
	v_add_f64 v[16:17], v[20:21], -v[36:37]
	v_add_f64 v[20:21], v[50:51], v[34:35]
	v_addc_co_u32_e32 v31, vcc, v56, v41, vcc
	v_add_co_u32_e32 v30, vcc, v30, v28
	v_add_f64 v[8:9], v[34:35], -v[50:51]
	v_addc_co_u32_e32 v31, vcc, v31, v29, vcc
	v_lshlrev_b64 v[28:29], 4, v[48:49]
	s_movk_i32 s0, 0x1000
	v_add_co_u32_e32 v28, vcc, v30, v28
	v_addc_co_u32_e32 v29, vcc, v31, v29, vcc
	global_store_dwordx4 v[28:29], v[0:3], off
	global_store_dwordx4 v[28:29], v[24:27], off offset:1760
	global_store_dwordx4 v[28:29], v[20:23], off offset:3520
	v_add_co_u32_e32 v0, vcc, s0, v28
	v_addc_co_u32_e32 v1, vcc, 0, v29, vcc
	global_store_dwordx4 v[0:1], v[16:19], off offset:1184
	global_store_dwordx4 v[0:1], v[12:15], off offset:2944
	v_add_co_u32_e32 v0, vcc, 0x2000, v28
	v_addc_co_u32_e32 v1, vcc, 0, v29, vcc
	global_store_dwordx4 v[0:1], v[8:11], off offset:608
	global_store_dwordx4 v[0:1], v[4:7], off offset:2368
.LBB0_21:
	s_endpgm
	.section	.rodata,"a",@progbits
	.p2align	6, 0x0
	.amdhsa_kernel fft_rtc_back_len770_factors_11_10_7_wgs_220_tpt_110_dp_op_CI_CI_unitstride_sbrr_dirReg
		.amdhsa_group_segment_fixed_size 0
		.amdhsa_private_segment_fixed_size 0
		.amdhsa_kernarg_size 104
		.amdhsa_user_sgpr_count 6
		.amdhsa_user_sgpr_private_segment_buffer 1
		.amdhsa_user_sgpr_dispatch_ptr 0
		.amdhsa_user_sgpr_queue_ptr 0
		.amdhsa_user_sgpr_kernarg_segment_ptr 1
		.amdhsa_user_sgpr_dispatch_id 0
		.amdhsa_user_sgpr_flat_scratch_init 0
		.amdhsa_user_sgpr_private_segment_size 0
		.amdhsa_uses_dynamic_stack 0
		.amdhsa_system_sgpr_private_segment_wavefront_offset 0
		.amdhsa_system_sgpr_workgroup_id_x 1
		.amdhsa_system_sgpr_workgroup_id_y 0
		.amdhsa_system_sgpr_workgroup_id_z 0
		.amdhsa_system_sgpr_workgroup_info 0
		.amdhsa_system_vgpr_workitem_id 0
		.amdhsa_next_free_vgpr 125
		.amdhsa_next_free_sgpr 32
		.amdhsa_reserve_vcc 1
		.amdhsa_reserve_flat_scratch 0
		.amdhsa_float_round_mode_32 0
		.amdhsa_float_round_mode_16_64 0
		.amdhsa_float_denorm_mode_32 3
		.amdhsa_float_denorm_mode_16_64 3
		.amdhsa_dx10_clamp 1
		.amdhsa_ieee_mode 1
		.amdhsa_fp16_overflow 0
		.amdhsa_exception_fp_ieee_invalid_op 0
		.amdhsa_exception_fp_denorm_src 0
		.amdhsa_exception_fp_ieee_div_zero 0
		.amdhsa_exception_fp_ieee_overflow 0
		.amdhsa_exception_fp_ieee_underflow 0
		.amdhsa_exception_fp_ieee_inexact 0
		.amdhsa_exception_int_div_zero 0
	.end_amdhsa_kernel
	.text
.Lfunc_end0:
	.size	fft_rtc_back_len770_factors_11_10_7_wgs_220_tpt_110_dp_op_CI_CI_unitstride_sbrr_dirReg, .Lfunc_end0-fft_rtc_back_len770_factors_11_10_7_wgs_220_tpt_110_dp_op_CI_CI_unitstride_sbrr_dirReg
                                        ; -- End function
	.section	.AMDGPU.csdata,"",@progbits
; Kernel info:
; codeLenInByte = 7576
; NumSgprs: 36
; NumVgprs: 125
; ScratchSize: 0
; MemoryBound: 1
; FloatMode: 240
; IeeeMode: 1
; LDSByteSize: 0 bytes/workgroup (compile time only)
; SGPRBlocks: 4
; VGPRBlocks: 31
; NumSGPRsForWavesPerEU: 36
; NumVGPRsForWavesPerEU: 125
; Occupancy: 2
; WaveLimiterHint : 1
; COMPUTE_PGM_RSRC2:SCRATCH_EN: 0
; COMPUTE_PGM_RSRC2:USER_SGPR: 6
; COMPUTE_PGM_RSRC2:TRAP_HANDLER: 0
; COMPUTE_PGM_RSRC2:TGID_X_EN: 1
; COMPUTE_PGM_RSRC2:TGID_Y_EN: 0
; COMPUTE_PGM_RSRC2:TGID_Z_EN: 0
; COMPUTE_PGM_RSRC2:TIDIG_COMP_CNT: 0
	.type	__hip_cuid_57545e9b2267786e,@object ; @__hip_cuid_57545e9b2267786e
	.section	.bss,"aw",@nobits
	.globl	__hip_cuid_57545e9b2267786e
__hip_cuid_57545e9b2267786e:
	.byte	0                               ; 0x0
	.size	__hip_cuid_57545e9b2267786e, 1

	.ident	"AMD clang version 19.0.0git (https://github.com/RadeonOpenCompute/llvm-project roc-6.4.0 25133 c7fe45cf4b819c5991fe208aaa96edf142730f1d)"
	.section	".note.GNU-stack","",@progbits
	.addrsig
	.addrsig_sym __hip_cuid_57545e9b2267786e
	.amdgpu_metadata
---
amdhsa.kernels:
  - .args:
      - .actual_access:  read_only
        .address_space:  global
        .offset:         0
        .size:           8
        .value_kind:     global_buffer
      - .offset:         8
        .size:           8
        .value_kind:     by_value
      - .actual_access:  read_only
        .address_space:  global
        .offset:         16
        .size:           8
        .value_kind:     global_buffer
      - .actual_access:  read_only
        .address_space:  global
        .offset:         24
        .size:           8
        .value_kind:     global_buffer
      - .actual_access:  read_only
        .address_space:  global
        .offset:         32
        .size:           8
        .value_kind:     global_buffer
      - .offset:         40
        .size:           8
        .value_kind:     by_value
      - .actual_access:  read_only
        .address_space:  global
        .offset:         48
        .size:           8
        .value_kind:     global_buffer
      - .actual_access:  read_only
        .address_space:  global
        .offset:         56
        .size:           8
        .value_kind:     global_buffer
      - .offset:         64
        .size:           4
        .value_kind:     by_value
      - .actual_access:  read_only
        .address_space:  global
        .offset:         72
        .size:           8
        .value_kind:     global_buffer
      - .actual_access:  read_only
        .address_space:  global
        .offset:         80
        .size:           8
        .value_kind:     global_buffer
      - .actual_access:  read_only
        .address_space:  global
        .offset:         88
        .size:           8
        .value_kind:     global_buffer
      - .actual_access:  write_only
        .address_space:  global
        .offset:         96
        .size:           8
        .value_kind:     global_buffer
    .group_segment_fixed_size: 0
    .kernarg_segment_align: 8
    .kernarg_segment_size: 104
    .language:       OpenCL C
    .language_version:
      - 2
      - 0
    .max_flat_workgroup_size: 220
    .name:           fft_rtc_back_len770_factors_11_10_7_wgs_220_tpt_110_dp_op_CI_CI_unitstride_sbrr_dirReg
    .private_segment_fixed_size: 0
    .sgpr_count:     36
    .sgpr_spill_count: 0
    .symbol:         fft_rtc_back_len770_factors_11_10_7_wgs_220_tpt_110_dp_op_CI_CI_unitstride_sbrr_dirReg.kd
    .uniform_work_group_size: 1
    .uses_dynamic_stack: false
    .vgpr_count:     125
    .vgpr_spill_count: 0
    .wavefront_size: 64
amdhsa.target:   amdgcn-amd-amdhsa--gfx906
amdhsa.version:
  - 1
  - 2
...

	.end_amdgpu_metadata
